;; amdgpu-corpus repo=ROCm/rocFFT kind=compiled arch=gfx1030 opt=O3
	.text
	.amdgcn_target "amdgcn-amd-amdhsa--gfx1030"
	.amdhsa_code_object_version 6
	.protected	fft_rtc_fwd_len945_factors_3_3_3_5_7_wgs_63_tpt_63_halfLds_sp_ip_CI_unitstride_sbrr_dirReg ; -- Begin function fft_rtc_fwd_len945_factors_3_3_3_5_7_wgs_63_tpt_63_halfLds_sp_ip_CI_unitstride_sbrr_dirReg
	.globl	fft_rtc_fwd_len945_factors_3_3_3_5_7_wgs_63_tpt_63_halfLds_sp_ip_CI_unitstride_sbrr_dirReg
	.p2align	8
	.type	fft_rtc_fwd_len945_factors_3_3_3_5_7_wgs_63_tpt_63_halfLds_sp_ip_CI_unitstride_sbrr_dirReg,@function
fft_rtc_fwd_len945_factors_3_3_3_5_7_wgs_63_tpt_63_halfLds_sp_ip_CI_unitstride_sbrr_dirReg: ; @fft_rtc_fwd_len945_factors_3_3_3_5_7_wgs_63_tpt_63_halfLds_sp_ip_CI_unitstride_sbrr_dirReg
; %bb.0:
	s_clause 0x2
	s_load_dwordx4 s[8:11], s[4:5], 0x0
	s_load_dwordx2 s[2:3], s[4:5], 0x50
	s_load_dwordx2 s[12:13], s[4:5], 0x18
	v_mul_u32_u24_e32 v1, 0x411, v0
	v_mov_b32_e32 v3, 0
	v_add_nc_u32_sdwa v5, s6, v1 dst_sel:DWORD dst_unused:UNUSED_PAD src0_sel:DWORD src1_sel:WORD_1
	v_mov_b32_e32 v1, 0
	v_mov_b32_e32 v6, v3
	v_mov_b32_e32 v2, 0
	s_waitcnt lgkmcnt(0)
	v_cmp_lt_u64_e64 s0, s[10:11], 2
	s_and_b32 vcc_lo, exec_lo, s0
	s_cbranch_vccnz .LBB0_8
; %bb.1:
	s_load_dwordx2 s[0:1], s[4:5], 0x10
	v_mov_b32_e32 v1, 0
	s_add_u32 s6, s12, 8
	v_mov_b32_e32 v2, 0
	s_addc_u32 s7, s13, 0
	s_mov_b64 s[16:17], 1
	s_waitcnt lgkmcnt(0)
	s_add_u32 s14, s0, 8
	s_addc_u32 s15, s1, 0
.LBB0_2:                                ; =>This Inner Loop Header: Depth=1
	s_load_dwordx2 s[18:19], s[14:15], 0x0
                                        ; implicit-def: $vgpr7_vgpr8
	s_mov_b32 s0, exec_lo
	s_waitcnt lgkmcnt(0)
	v_or_b32_e32 v4, s19, v6
	v_cmpx_ne_u64_e32 0, v[3:4]
	s_xor_b32 s1, exec_lo, s0
	s_cbranch_execz .LBB0_4
; %bb.3:                                ;   in Loop: Header=BB0_2 Depth=1
	v_cvt_f32_u32_e32 v4, s18
	v_cvt_f32_u32_e32 v7, s19
	s_sub_u32 s0, 0, s18
	s_subb_u32 s20, 0, s19
	v_fmac_f32_e32 v4, 0x4f800000, v7
	v_rcp_f32_e32 v4, v4
	v_mul_f32_e32 v4, 0x5f7ffffc, v4
	v_mul_f32_e32 v7, 0x2f800000, v4
	v_trunc_f32_e32 v7, v7
	v_fmac_f32_e32 v4, 0xcf800000, v7
	v_cvt_u32_f32_e32 v7, v7
	v_cvt_u32_f32_e32 v4, v4
	v_mul_lo_u32 v8, s0, v7
	v_mul_hi_u32 v9, s0, v4
	v_mul_lo_u32 v10, s20, v4
	v_add_nc_u32_e32 v8, v9, v8
	v_mul_lo_u32 v9, s0, v4
	v_add_nc_u32_e32 v8, v8, v10
	v_mul_hi_u32 v10, v4, v9
	v_mul_lo_u32 v11, v4, v8
	v_mul_hi_u32 v12, v4, v8
	v_mul_hi_u32 v13, v7, v9
	v_mul_lo_u32 v9, v7, v9
	v_mul_hi_u32 v14, v7, v8
	v_mul_lo_u32 v8, v7, v8
	v_add_co_u32 v10, vcc_lo, v10, v11
	v_add_co_ci_u32_e32 v11, vcc_lo, 0, v12, vcc_lo
	v_add_co_u32 v9, vcc_lo, v10, v9
	v_add_co_ci_u32_e32 v9, vcc_lo, v11, v13, vcc_lo
	v_add_co_ci_u32_e32 v10, vcc_lo, 0, v14, vcc_lo
	v_add_co_u32 v8, vcc_lo, v9, v8
	v_add_co_ci_u32_e32 v9, vcc_lo, 0, v10, vcc_lo
	v_add_co_u32 v4, vcc_lo, v4, v8
	v_add_co_ci_u32_e32 v7, vcc_lo, v7, v9, vcc_lo
	v_mul_hi_u32 v8, s0, v4
	v_mul_lo_u32 v10, s20, v4
	v_mul_lo_u32 v9, s0, v7
	v_add_nc_u32_e32 v8, v8, v9
	v_mul_lo_u32 v9, s0, v4
	v_add_nc_u32_e32 v8, v8, v10
	v_mul_hi_u32 v10, v4, v9
	v_mul_lo_u32 v11, v4, v8
	v_mul_hi_u32 v12, v4, v8
	v_mul_hi_u32 v13, v7, v9
	v_mul_lo_u32 v9, v7, v9
	v_mul_hi_u32 v14, v7, v8
	v_mul_lo_u32 v8, v7, v8
	v_add_co_u32 v10, vcc_lo, v10, v11
	v_add_co_ci_u32_e32 v11, vcc_lo, 0, v12, vcc_lo
	v_add_co_u32 v9, vcc_lo, v10, v9
	v_add_co_ci_u32_e32 v9, vcc_lo, v11, v13, vcc_lo
	v_add_co_ci_u32_e32 v10, vcc_lo, 0, v14, vcc_lo
	v_add_co_u32 v8, vcc_lo, v9, v8
	v_add_co_ci_u32_e32 v9, vcc_lo, 0, v10, vcc_lo
	v_add_co_u32 v4, vcc_lo, v4, v8
	v_add_co_ci_u32_e32 v11, vcc_lo, v7, v9, vcc_lo
	v_mul_hi_u32 v13, v5, v4
	v_mad_u64_u32 v[9:10], null, v6, v4, 0
	v_mad_u64_u32 v[7:8], null, v5, v11, 0
	;; [unrolled: 1-line block ×3, first 2 shown]
	v_add_co_u32 v4, vcc_lo, v13, v7
	v_add_co_ci_u32_e32 v7, vcc_lo, 0, v8, vcc_lo
	v_add_co_u32 v4, vcc_lo, v4, v9
	v_add_co_ci_u32_e32 v4, vcc_lo, v7, v10, vcc_lo
	v_add_co_ci_u32_e32 v7, vcc_lo, 0, v12, vcc_lo
	v_add_co_u32 v4, vcc_lo, v4, v11
	v_add_co_ci_u32_e32 v9, vcc_lo, 0, v7, vcc_lo
	v_mul_lo_u32 v10, s19, v4
	v_mad_u64_u32 v[7:8], null, s18, v4, 0
	v_mul_lo_u32 v11, s18, v9
	v_sub_co_u32 v7, vcc_lo, v5, v7
	v_add3_u32 v8, v8, v11, v10
	v_sub_nc_u32_e32 v10, v6, v8
	v_subrev_co_ci_u32_e64 v10, s0, s19, v10, vcc_lo
	v_add_co_u32 v11, s0, v4, 2
	v_add_co_ci_u32_e64 v12, s0, 0, v9, s0
	v_sub_co_u32 v13, s0, v7, s18
	v_sub_co_ci_u32_e32 v8, vcc_lo, v6, v8, vcc_lo
	v_subrev_co_ci_u32_e64 v10, s0, 0, v10, s0
	v_cmp_le_u32_e32 vcc_lo, s18, v13
	v_cmp_eq_u32_e64 s0, s19, v8
	v_cndmask_b32_e64 v13, 0, -1, vcc_lo
	v_cmp_le_u32_e32 vcc_lo, s19, v10
	v_cndmask_b32_e64 v14, 0, -1, vcc_lo
	v_cmp_le_u32_e32 vcc_lo, s18, v7
	;; [unrolled: 2-line block ×3, first 2 shown]
	v_cndmask_b32_e64 v15, 0, -1, vcc_lo
	v_cmp_eq_u32_e32 vcc_lo, s19, v10
	v_cndmask_b32_e64 v7, v15, v7, s0
	v_cndmask_b32_e32 v10, v14, v13, vcc_lo
	v_add_co_u32 v13, vcc_lo, v4, 1
	v_add_co_ci_u32_e32 v14, vcc_lo, 0, v9, vcc_lo
	v_cmp_ne_u32_e32 vcc_lo, 0, v10
	v_cndmask_b32_e32 v8, v14, v12, vcc_lo
	v_cndmask_b32_e32 v10, v13, v11, vcc_lo
	v_cmp_ne_u32_e32 vcc_lo, 0, v7
	v_cndmask_b32_e32 v8, v9, v8, vcc_lo
	v_cndmask_b32_e32 v7, v4, v10, vcc_lo
.LBB0_4:                                ;   in Loop: Header=BB0_2 Depth=1
	s_andn2_saveexec_b32 s0, s1
	s_cbranch_execz .LBB0_6
; %bb.5:                                ;   in Loop: Header=BB0_2 Depth=1
	v_cvt_f32_u32_e32 v4, s18
	s_sub_i32 s1, 0, s18
	v_rcp_iflag_f32_e32 v4, v4
	v_mul_f32_e32 v4, 0x4f7ffffe, v4
	v_cvt_u32_f32_e32 v4, v4
	v_mul_lo_u32 v7, s1, v4
	v_mul_hi_u32 v7, v4, v7
	v_add_nc_u32_e32 v4, v4, v7
	v_mul_hi_u32 v4, v5, v4
	v_mul_lo_u32 v7, v4, s18
	v_add_nc_u32_e32 v8, 1, v4
	v_sub_nc_u32_e32 v7, v5, v7
	v_subrev_nc_u32_e32 v9, s18, v7
	v_cmp_le_u32_e32 vcc_lo, s18, v7
	v_cndmask_b32_e32 v7, v7, v9, vcc_lo
	v_cndmask_b32_e32 v4, v4, v8, vcc_lo
	v_cmp_le_u32_e32 vcc_lo, s18, v7
	v_add_nc_u32_e32 v8, 1, v4
	v_cndmask_b32_e32 v7, v4, v8, vcc_lo
	v_mov_b32_e32 v8, v3
.LBB0_6:                                ;   in Loop: Header=BB0_2 Depth=1
	s_or_b32 exec_lo, exec_lo, s0
	s_load_dwordx2 s[0:1], s[6:7], 0x0
	v_mul_lo_u32 v4, v8, s18
	v_mul_lo_u32 v11, v7, s19
	v_mad_u64_u32 v[9:10], null, v7, s18, 0
	s_add_u32 s16, s16, 1
	s_addc_u32 s17, s17, 0
	s_add_u32 s6, s6, 8
	s_addc_u32 s7, s7, 0
	;; [unrolled: 2-line block ×3, first 2 shown]
	v_add3_u32 v4, v10, v11, v4
	v_sub_co_u32 v5, vcc_lo, v5, v9
	v_sub_co_ci_u32_e32 v4, vcc_lo, v6, v4, vcc_lo
	s_waitcnt lgkmcnt(0)
	v_mul_lo_u32 v6, s1, v5
	v_mul_lo_u32 v4, s0, v4
	v_mad_u64_u32 v[1:2], null, s0, v5, v[1:2]
	v_cmp_ge_u64_e64 s0, s[16:17], s[10:11]
	s_and_b32 vcc_lo, exec_lo, s0
	v_add3_u32 v2, v6, v2, v4
	s_cbranch_vccnz .LBB0_9
; %bb.7:                                ;   in Loop: Header=BB0_2 Depth=1
	v_mov_b32_e32 v5, v7
	v_mov_b32_e32 v6, v8
	s_branch .LBB0_2
.LBB0_8:
	v_mov_b32_e32 v8, v6
	v_mov_b32_e32 v7, v5
.LBB0_9:
	s_lshl_b64 s[0:1], s[10:11], 3
	v_mul_hi_u32 v5, 0x4104105, v0
	s_add_u32 s0, s12, s0
	s_addc_u32 s1, s13, s1
                                        ; implicit-def: $vgpr20
                                        ; implicit-def: $vgpr32
                                        ; implicit-def: $vgpr34
                                        ; implicit-def: $vgpr15
                                        ; implicit-def: $vgpr11
                                        ; implicit-def: $vgpr28
                                        ; implicit-def: $vgpr18
                                        ; implicit-def: $vgpr13
                                        ; implicit-def: $vgpr24
                                        ; implicit-def: $vgpr9
                                        ; implicit-def: $vgpr22
                                        ; implicit-def: $vgpr30
                                        ; implicit-def: $vgpr26
	s_load_dwordx2 s[0:1], s[0:1], 0x0
	s_load_dwordx2 s[4:5], s[4:5], 0x20
	s_waitcnt lgkmcnt(0)
	v_mul_lo_u32 v3, s0, v8
	v_mul_lo_u32 v4, s1, v7
	v_mad_u64_u32 v[1:2], null, s0, v7, v[1:2]
	v_cmp_gt_u64_e32 vcc_lo, s[4:5], v[7:8]
                                        ; implicit-def: $vgpr7
	v_add3_u32 v2, v4, v2, v3
	v_mul_u32_u24_e32 v4, 63, v5
                                        ; implicit-def: $vgpr5
	v_lshlrev_b64 v[2:3], 3, v[1:2]
	v_sub_nc_u32_e32 v0, v0, v4
	s_and_saveexec_b32 s1, vcc_lo
	s_cbranch_execz .LBB0_11
; %bb.10:
	v_mov_b32_e32 v1, 0
	v_lshlrev_b64 v[4:5], 3, v[0:1]
	v_add_co_u32 v1, s0, s2, v2
	v_add_co_ci_u32_e64 v6, s0, s3, v3, s0
	v_add_co_u32 v4, s0, v1, v4
	v_add_co_ci_u32_e64 v5, s0, v6, v5, s0
	v_add_co_u32 v12, s0, 0x1000, v4
	v_add_co_ci_u32_e64 v13, s0, 0, v5, s0
	v_add_co_u32 v6, s0, 0x800, v4
	v_add_co_ci_u32_e64 v7, s0, 0, v5, s0
	v_add_co_u32 v35, s0, 0x1800, v4
	s_clause 0x7
	global_load_dwordx2 v[29:30], v[12:13], off offset:1448
	global_load_dwordx2 v[14:15], v[6:7], off offset:976
	;; [unrolled: 1-line block ×3, first 2 shown]
	global_load_dwordx2 v[19:20], v[4:5], off
	global_load_dwordx2 v[25:26], v[4:5], off offset:504
	global_load_dwordx2 v[21:22], v[4:5], off offset:1008
	;; [unrolled: 1-line block ×4, first 2 shown]
	v_add_co_ci_u32_e64 v36, s0, 0, v5, s0
	s_clause 0x6
	global_load_dwordx2 v[31:32], v[6:7], off offset:472
	global_load_dwordx2 v[23:24], v[4:5], off offset:2016
	;; [unrolled: 1-line block ×7, first 2 shown]
.LBB0_11:
	s_or_b32 exec_lo, exec_lo, s1
	s_waitcnt vmcnt(4)
	v_add_f32_e32 v1, v31, v33
	v_add_f32_e32 v16, v19, v31
	v_add_f32_e32 v36, v32, v34
	v_sub_f32_e32 v31, v31, v33
	v_sub_f32_e32 v35, v32, v34
	v_fmac_f32_e32 v19, -0.5, v1
	v_add_f32_e32 v1, v20, v32
	v_fmac_f32_e32 v20, -0.5, v36
	v_add_f32_e32 v16, v16, v33
	v_add_f32_e32 v33, v14, v25
	v_mad_u32_u24 v41, v0, 12, 0
	v_add_f32_e32 v36, v1, v34
	v_add_f32_e32 v1, v14, v29
	v_fmamk_f32 v37, v31, 0xbf5db3d7, v20
	v_fmac_f32_e32 v20, 0x3f5db3d7, v31
	v_add_f32_e32 v31, v15, v30
	v_add_f32_e32 v33, v29, v33
	v_fmac_f32_e32 v25, -0.5, v1
	v_sub_f32_e32 v1, v15, v30
	v_add_f32_e32 v15, v15, v26
	v_fmac_f32_e32 v26, -0.5, v31
	v_sub_f32_e32 v14, v14, v29
	v_fmamk_f32 v32, v35, 0x3f5db3d7, v19
	v_fmamk_f32 v29, v1, 0x3f5db3d7, v25
	v_fmac_f32_e32 v25, 0xbf5db3d7, v1
	s_waitcnt vmcnt(2)
	v_add_f32_e32 v1, v10, v27
	v_add_f32_e32 v30, v30, v15
	v_fmamk_f32 v31, v14, 0xbf5db3d7, v26
	v_add_f32_e32 v15, v10, v21
	v_fmac_f32_e32 v26, 0x3f5db3d7, v14
	v_add_f32_e32 v14, v11, v28
	v_fmac_f32_e32 v21, -0.5, v1
	v_sub_f32_e32 v1, v11, v28
	v_add_f32_e32 v11, v11, v22
	v_sub_f32_e32 v10, v10, v27
	v_fmac_f32_e32 v22, -0.5, v14
	v_fmac_f32_e32 v19, 0xbf5db3d7, v35
	v_fmamk_f32 v14, v1, 0x3f5db3d7, v21
	v_fmac_f32_e32 v21, 0xbf5db3d7, v1
	s_waitcnt vmcnt(1)
	v_add_f32_e32 v1, v12, v8
	v_add_f32_e32 v28, v28, v11
	v_fmamk_f32 v38, v10, 0xbf5db3d7, v22
	v_add_f32_e32 v11, v17, v8
	v_fmac_f32_e32 v22, 0x3f5db3d7, v10
	v_add_f32_e32 v10, v13, v9
	v_fmac_f32_e32 v17, -0.5, v1
	v_sub_f32_e32 v1, v9, v13
	v_add_f32_e32 v9, v18, v9
	v_sub_f32_e32 v8, v8, v12
	v_fmac_f32_e32 v18, -0.5, v10
	v_add_f32_e32 v15, v27, v15
	v_fmamk_f32 v10, v1, 0x3f5db3d7, v17
	v_fmac_f32_e32 v17, 0xbf5db3d7, v1
	s_waitcnt vmcnt(0)
	v_add_f32_e32 v1, v4, v6
	v_add_f32_e32 v39, v13, v9
	v_fmamk_f32 v40, v8, 0xbf5db3d7, v18
	v_add_f32_e32 v9, v6, v23
	v_fmac_f32_e32 v18, 0x3f5db3d7, v8
	v_add_f32_e32 v8, v5, v7
	v_fmac_f32_e32 v23, -0.5, v1
	v_sub_f32_e32 v1, v7, v5
	v_add_f32_e32 v11, v12, v11
	v_add_f32_e32 v9, v4, v9
	;; [unrolled: 1-line block ×3, first 2 shown]
	v_fmac_f32_e32 v24, -0.5, v8
	v_sub_f32_e32 v4, v6, v4
	v_fmamk_f32 v6, v1, 0x3f5db3d7, v23
	ds_write2_b32 v41, v33, v29 offset0:189 offset1:190
	v_add_nc_u32_e32 v29, 0x5e8, v41
	v_add_nc_u32_e32 v44, 0x8dc, v41
	;; [unrolled: 1-line block ×3, first 2 shown]
	v_fmac_f32_e32 v23, 0xbf5db3d7, v1
	v_add_nc_u32_e32 v45, 0x500, v41
	v_fmamk_f32 v43, v4, 0xbf5db3d7, v24
	v_fmac_f32_e32 v24, 0x3f5db3d7, v4
	ds_write2_b32 v41, v16, v32 offset1:1
	ds_write2_b32 v41, v19, v25 offset0:2 offset1:191
	v_lshlrev_b32_e32 v4, 3, v0
	ds_write2_b32 v29, v15, v14 offset1:1
	ds_write2_b32 v44, v11, v10 offset1:1
	ds_write2_b32 v45, v21, v17 offset0:60 offset1:249
	v_add_nc_u32_e32 v25, 0xfc, v0
	ds_write2_b32 v46, v9, v6 offset1:1
	ds_write_b32 v41, v23 offset:3032
	v_mov_b32_e32 v23, 0xaaab
	v_add_nc_u32_e32 v1, 63, v0
	v_sub_nc_u32_e32 v32, v41, v4
	v_add_f32_e32 v42, v5, v7
	s_waitcnt lgkmcnt(0)
	v_mul_u32_u24_sdwa v23, v25, v23 dst_sel:DWORD dst_unused:UNUSED_PAD src0_sel:WORD_0 src1_sel:DWORD
	s_barrier
	v_add_nc_u32_e32 v33, 0x800, v32
	v_add_nc_u32_e32 v34, 0x400, v32
	;; [unrolled: 1-line block ×3, first 2 shown]
	v_lshrrev_b32_e32 v27, 17, v23
	v_and_b32_e32 v23, 0xff, v1
	v_add_nc_u32_e32 v19, 0xa00, v32
	v_add_nc_u32_e32 v35, 0x600, v32
	buffer_gl0_inv
	ds_read2_b32 v[6:7], v32 offset1:63
	ds_read2_b32 v[4:5], v21 offset0:124 offset1:187
	ds_read2_b32 v[8:9], v33 offset0:118 offset1:181
	;; [unrolled: 1-line block ×6, first 2 shown]
	ds_read_b32 v61, v32 offset:3528
	s_waitcnt lgkmcnt(0)
	s_barrier
	buffer_gl0_inv
	ds_write2_b32 v41, v36, v37 offset1:1
	ds_write2_b32 v41, v30, v31 offset0:189 offset1:190
	ds_write2_b32 v41, v20, v26 offset0:2 offset1:191
	ds_write2_b32 v29, v28, v38 offset1:1
	v_mul_lo_u16 v28, 0xab, v23
	v_mul_lo_u16 v20, v27, 3
	v_add_nc_u32_e32 v50, 0x7e, v0
	ds_write2_b32 v44, v39, v40 offset1:1
	ds_write2_b32 v45, v22, v18 offset0:60 offset1:249
	v_lshrrev_b16 v63, 9, v28
	v_sub_nc_u16 v62, v25, v20
	v_and_b32_e32 v20, 0xff, v50
	ds_write2_b32 v46, v42, v43 offset1:1
	ds_write_b32 v41, v24 offset:3032
	v_mov_b32_e32 v26, 4
	v_mul_lo_u16 v24, v63, 3
	s_waitcnt lgkmcnt(0)
	v_mul_lo_u16 v22, 0xab, v20
	s_barrier
	v_lshlrev_b32_sdwa v18, v26, v62 dst_sel:DWORD dst_unused:UNUSED_PAD src0_sel:DWORD src1_sel:WORD_0
	v_sub_nc_u16 v65, v1, v24
	buffer_gl0_inv
	v_lshrrev_b16 v64, 9, v22
	v_add_nc_u16 v24, v0, 0xbd
	global_load_dwordx4 v[28:31], v18, s[8:9]
	v_lshlrev_b32_sdwa v22, v26, v65 dst_sel:DWORD dst_unused:UNUSED_PAD src0_sel:DWORD src1_sel:BYTE_0
	v_mov_b32_e32 v73, 36
	v_mul_u32_u24_e32 v27, 36, v27
	v_and_b32_e32 v67, 0xff, v24
	v_cmp_gt_u32_e64 s0, 9, v0
	global_load_dwordx4 v[36:39], v22, s[8:9]
	v_mul_lo_u16 v18, v64, 3
	v_and_b32_e32 v22, 0xff, v0
	v_sub_nc_u16 v66, v50, v18
	v_lshlrev_b32_sdwa v18, v26, v66 dst_sel:DWORD dst_unused:UNUSED_PAD src0_sel:DWORD src1_sel:BYTE_0
	global_load_dwordx4 v[40:43], v18, s[8:9]
	v_mul_lo_u16 v18, 0xab, v67
	v_lshrrev_b16 v68, 9, v18
	v_mul_lo_u16 v18, 0xab, v22
	v_mul_lo_u16 v44, v68, 3
	v_lshrrev_b16 v69, 9, v18
	v_sub_nc_u16 v70, v24, v44
	v_mul_lo_u16 v18, v69, 3
	v_lshlrev_b32_sdwa v44, v26, v70 dst_sel:DWORD dst_unused:UNUSED_PAD src0_sel:DWORD src1_sel:BYTE_0
	v_sub_nc_u16 v71, v0, v18
	global_load_dwordx4 v[44:47], v44, s[8:9]
	v_lshlrev_b32_sdwa v18, v26, v71 dst_sel:DWORD dst_unused:UNUSED_PAD src0_sel:DWORD src1_sel:BYTE_0
	global_load_dwordx4 v[51:54], v18, s[8:9]
	ds_read_b32 v72, v32 offset:3528
	ds_read2_b32 v[48:49], v35 offset0:120 offset1:183
	ds_read2_b32 v[55:56], v34 offset0:122 offset1:185
	;; [unrolled: 1-line block ×4, first 2 shown]
	s_waitcnt vmcnt(4) lgkmcnt(4)
	v_mul_f32_e32 v18, v72, v31
	v_mul_f32_e32 v74, v61, v31
	s_waitcnt lgkmcnt(3)
	v_mul_f32_e32 v31, v49, v29
	v_mul_f32_e32 v75, v15, v29
	v_mul_lo_u16 v29, v22, 57
	v_fma_f32 v61, v61, v30, -v18
	v_fmac_f32_e32 v74, v72, v30
	v_fma_f32 v72, v15, v28, -v31
	s_waitcnt vmcnt(3) lgkmcnt(2)
	v_mul_f32_e32 v15, v55, v37
	v_fmac_f32_e32 v75, v49, v28
	v_mul_f32_e32 v49, v16, v37
	s_waitcnt lgkmcnt(1)
	v_mul_f32_e32 v28, v58, v39
	v_mul_f32_e32 v39, v9, v39
	v_fma_f32 v76, v16, v36, -v15
	v_mov_b32_e32 v18, 2
	v_lshrrev_b16 v15, 9, v29
	v_fma_f32 v9, v9, v38, -v28
	v_fmac_f32_e32 v39, v58, v38
	ds_read2_b32 v[28:29], v21 offset0:124 offset1:187
	ds_read2_b32 v[30:31], v32 offset1:63
	v_fmac_f32_e32 v49, v55, v36
	v_mul_lo_u16 v55, v23, 57
	ds_read2_b32 v[36:37], v32 offset0:126 offset1:189
	s_waitcnt vmcnt(2)
	v_mul_f32_e32 v16, v56, v41
	v_mul_f32_e32 v41, v17, v41
	v_mov_b32_e32 v38, 0xe38f
	s_waitcnt vmcnt(0) lgkmcnt(0)
	s_barrier
	v_fma_f32 v58, v17, v40, -v16
	v_mul_f32_e32 v16, v59, v43
	v_mul_f32_e32 v43, v12, v43
	v_fmac_f32_e32 v41, v56, v40
	v_mul_lo_u16 v40, v67, 57
	v_mul_lo_u16 v17, v20, 57
	v_fma_f32 v56, v12, v42, -v16
	v_mul_u32_u24_sdwa v12, v69, v73 dst_sel:DWORD dst_unused:UNUSED_PAD src0_sel:WORD_0 src1_sel:DWORD
	v_lshlrev_b32_sdwa v16, v18, v71 dst_sel:DWORD dst_unused:UNUSED_PAD src0_sel:DWORD src1_sel:BYTE_0
	v_fmac_f32_e32 v43, v59, v42
	v_mul_u32_u24_sdwa v59, v64, v73 dst_sel:DWORD dst_unused:UNUSED_PAD src0_sel:WORD_0 src1_sel:DWORD
	v_mul_u32_u24_sdwa v42, v63, v73 dst_sel:DWORD dst_unused:UNUSED_PAD src0_sel:WORD_0 src1_sel:DWORD
	;; [unrolled: 1-line block ×3, first 2 shown]
	v_add3_u32 v64, 0, v12, v16
	v_lshrrev_b16 v16, 9, v55
	v_lshlrev_b32_sdwa v55, v18, v62 dst_sel:DWORD dst_unused:UNUSED_PAD src0_sel:DWORD src1_sel:WORD_0
	v_lshlrev_b32_sdwa v62, v18, v65 dst_sel:DWORD dst_unused:UNUSED_PAD src0_sel:DWORD src1_sel:BYTE_0
	v_lshlrev_b32_sdwa v65, v18, v66 dst_sel:DWORD dst_unused:UNUSED_PAD src0_sel:DWORD src1_sel:BYTE_0
	v_add_f32_e32 v67, v31, v49
	v_mul_lo_u16 v12, v15, 9
	v_add3_u32 v27, 0, v27, v55
	v_lshlrev_b32_sdwa v55, v18, v70 dst_sel:DWORD dst_unused:UNUSED_PAD src0_sel:DWORD src1_sel:BYTE_0
	v_add3_u32 v59, 0, v59, v65
	v_mul_f32_e32 v65, v48, v45
	v_mul_f32_e32 v45, v14, v45
	v_add_f32_e32 v70, v58, v56
	v_add3_u32 v63, 0, v63, v55
	v_mul_f32_e32 v55, v60, v47
	v_fma_f32 v14, v14, v44, -v65
	v_fmac_f32_e32 v45, v48, v44
	v_mul_f32_e32 v44, v57, v54
	v_mul_f32_e32 v48, v8, v54
	;; [unrolled: 1-line block ×5, first 2 shown]
	v_fma_f32 v8, v8, v53, -v44
	v_fmac_f32_e32 v48, v57, v53
	v_fma_f32 v5, v5, v51, -v54
	v_fmac_f32_e32 v52, v29, v51
	v_add_f32_e32 v29, v4, v72
	v_add_f32_e32 v54, v75, v74
	v_fma_f32 v13, v13, v46, -v55
	v_add_f32_e32 v53, v28, v75
	v_add_f32_e32 v44, v72, v61
	v_add_f32_e32 v55, v5, v8
	v_fmac_f32_e32 v47, v60, v46
	v_add_f32_e32 v57, v6, v5
	v_sub_f32_e32 v60, v52, v48
	v_add_f32_e32 v65, v30, v52
	v_add_f32_e32 v52, v52, v48
	v_sub_f32_e32 v51, v72, v61
	v_add_f32_e32 v29, v29, v61
	v_add_f32_e32 v61, v76, v9
	v_fmac_f32_e32 v28, -0.5, v54
	v_sub_f32_e32 v54, v49, v39
	v_add_f32_e32 v49, v49, v39
	v_sub_f32_e32 v46, v75, v74
	v_add_f32_e32 v53, v53, v74
	v_add_f32_e32 v74, v14, v13
	v_fmac_f32_e32 v4, -0.5, v44
	v_sub_f32_e32 v71, v41, v43
	v_add_f32_e32 v72, v36, v41
	v_add_f32_e32 v41, v41, v43
	v_fma_f32 v6, -0.5, v55, v6
	v_sub_f32_e32 v5, v5, v8
	v_add_f32_e32 v8, v57, v8
	v_add_f32_e32 v57, v37, v45
	;; [unrolled: 1-line block ×3, first 2 shown]
	v_sub_f32_e32 v48, v45, v47
	v_add_f32_e32 v45, v45, v47
	v_fma_f32 v30, -0.5, v52, v30
	v_add_f32_e32 v44, v7, v76
	v_fmac_f32_e32 v7, -0.5, v61
	v_sub_f32_e32 v68, v76, v9
	v_fmac_f32_e32 v31, -0.5, v49
	v_add_f32_e32 v69, v10, v58
	v_add_f32_e32 v73, v11, v14
	v_fmac_f32_e32 v11, -0.5, v74
	v_fma_f32 v10, -0.5, v70, v10
	v_sub_nc_u16 v12, v0, v12
	v_mul_lo_u16 v66, v16, 9
	v_sub_f32_e32 v58, v58, v56
	v_fma_f32 v36, -0.5, v41, v36
	v_fmamk_f32 v41, v46, 0x3f5db3d7, v4
	v_fmac_f32_e32 v4, 0xbf5db3d7, v46
	v_fmamk_f32 v46, v60, 0x3f5db3d7, v6
	v_sub_f32_e32 v14, v14, v13
	v_fmac_f32_e32 v37, -0.5, v45
	v_fmamk_f32 v45, v51, 0xbf5db3d7, v28
	v_fmac_f32_e32 v28, 0x3f5db3d7, v51
	v_fmac_f32_e32 v6, 0xbf5db3d7, v60
	v_fmamk_f32 v51, v5, 0xbf5db3d7, v30
	v_add3_u32 v42, 0, v42, v62
	v_add_f32_e32 v9, v44, v9
	v_fmac_f32_e32 v30, 0x3f5db3d7, v5
	v_fmamk_f32 v5, v54, 0x3f5db3d7, v7
	v_add_f32_e32 v39, v67, v39
	v_fmac_f32_e32 v7, 0xbf5db3d7, v54
	v_fmamk_f32 v52, v68, 0xbf5db3d7, v31
	;; [unrolled: 3-line block ×3, first 2 shown]
	v_fmamk_f32 v55, v48, 0x3f5db3d7, v11
	v_fmac_f32_e32 v11, 0xbf5db3d7, v48
	v_lshrrev_b16 v17, 9, v17
	v_lshlrev_b32_sdwa v62, v26, v12 dst_sel:DWORD dst_unused:UNUSED_PAD src0_sel:DWORD src1_sel:BYTE_0
	buffer_gl0_inv
	v_add_f32_e32 v43, v72, v43
	v_add_f32_e32 v13, v73, v13
	v_fmac_f32_e32 v10, 0xbf5db3d7, v71
	v_fmamk_f32 v54, v58, 0xbf5db3d7, v36
	ds_write2_b32 v64, v8, v46 offset1:3
	ds_write_b32 v64, v6 offset:24
	ds_write2_b32 v42, v9, v5 offset1:3
	ds_write_b32 v42, v7 offset:24
	ds_write2_b32 v59, v44, v49 offset1:3
	ds_write_b32 v59, v10 offset:24
	ds_write2_b32 v63, v13, v55 offset1:3
	ds_write_b32 v63, v11 offset:24
	ds_write2_b32 v27, v29, v41 offset1:3
	ds_write_b32 v27, v4 offset:24
	v_sub_nc_u16 v11, v1, v66
	v_add_f32_e32 v47, v57, v47
	v_fmac_f32_e32 v36, 0x3f5db3d7, v58
	v_fmamk_f32 v60, v14, 0xbf5db3d7, v37
	v_fmac_f32_e32 v37, 0x3f5db3d7, v14
	s_waitcnt lgkmcnt(0)
	s_barrier
	buffer_gl0_inv
	ds_read2_b32 v[6:7], v32 offset1:63
	ds_read2_b32 v[4:5], v21 offset0:124 offset1:187
	ds_read2_b32 v[13:14], v33 offset0:118 offset1:181
	;; [unrolled: 1-line block ×6, first 2 shown]
	ds_read_b32 v61, v32 offset:3528
	s_waitcnt lgkmcnt(0)
	s_barrier
	buffer_gl0_inv
	ds_write2_b32 v64, v65, v51 offset1:3
	ds_write_b32 v64, v30 offset:24
	ds_write2_b32 v42, v39, v52 offset1:3
	ds_write_b32 v42, v31 offset:24
	;; [unrolled: 2-line block ×5, first 2 shown]
	v_mul_u32_u24_sdwa v31, v25, v38 dst_sel:DWORD dst_unused:UNUSED_PAD src0_sel:WORD_0 src1_sel:DWORD
	s_waitcnt lgkmcnt(0)
	s_barrier
	buffer_gl0_inv
	global_load_dwordx4 v[27:30], v62, s[8:9] offset:48
	v_mul_lo_u16 v10, v17, 9
	v_lshrrev_b16 v59, 9, v40
	v_lshlrev_b32_sdwa v36, v26, v11 dst_sel:DWORD dst_unused:UNUSED_PAD src0_sel:DWORD src1_sel:BYTE_0
	v_lshrrev_b32_e32 v31, 19, v31
	v_lshlrev_b32_sdwa v12, v18, v12 dst_sel:DWORD dst_unused:UNUSED_PAD src0_sel:DWORD src1_sel:BYTE_0
	v_sub_nc_u16 v60, v50, v10
	v_mul_lo_u16 v10, v59, 9
	global_load_dwordx4 v[36:39], v36, s[8:9] offset:48
	v_mul_lo_u16 v44, v31, 9
	v_lshlrev_b32_sdwa v11, v18, v11 dst_sel:DWORD dst_unused:UNUSED_PAD src0_sel:DWORD src1_sel:BYTE_0
	v_lshlrev_b32_sdwa v40, v26, v60 dst_sel:DWORD dst_unused:UNUSED_PAD src0_sel:DWORD src1_sel:BYTE_0
	v_sub_nc_u16 v24, v24, v10
	v_mul_u32_u24_e32 v31, 0x6c, v31
	v_sub_nc_u16 v25, v25, v44
	v_mul_lo_u16 v20, v20, 19
	global_load_dwordx4 v[40:43], v40, s[8:9] offset:48
	v_lshlrev_b32_sdwa v10, v26, v24 dst_sel:DWORD dst_unused:UNUSED_PAD src0_sel:DWORD src1_sel:BYTE_0
	v_lshlrev_b32_sdwa v24, v18, v24 dst_sel:DWORD dst_unused:UNUSED_PAD src0_sel:DWORD src1_sel:BYTE_0
	v_lshlrev_b32_sdwa v26, v26, v25 dst_sel:DWORD dst_unused:UNUSED_PAD src0_sel:DWORD src1_sel:WORD_0
	s_clause 0x1
	global_load_dwordx4 v[44:47], v10, s[8:9] offset:48
	global_load_dwordx4 v[51:54], v26, s[8:9] offset:48
	v_mul_lo_u16 v10, v22, 19
	v_mov_b32_e32 v26, 0x6c
	v_mul_lo_u16 v22, v23, 19
	v_lshlrev_b32_sdwa v25, v18, v25 dst_sel:DWORD dst_unused:UNUSED_PAD src0_sel:DWORD src1_sel:WORD_0
	v_mov_b32_e32 v66, 5
	v_lshrrev_b16 v10, 9, v10
	v_mul_u32_u24_sdwa v62, v15, v26 dst_sel:DWORD dst_unused:UNUSED_PAD src0_sel:WORD_0 src1_sel:DWORD
	v_lshrrev_b16 v80, 9, v22
	v_mul_u32_u24_sdwa v63, v16, v26 dst_sel:DWORD dst_unused:UNUSED_PAD src0_sel:WORD_0 src1_sel:DWORD
	ds_read2_b32 v[22:23], v33 offset0:118 offset1:181
	v_mul_lo_u16 v15, v10, 27
	v_mul_u32_u24_sdwa v17, v17, v26 dst_sel:DWORD dst_unused:UNUSED_PAD src0_sel:WORD_0 src1_sel:DWORD
	v_mul_lo_u16 v64, v80, 27
	v_mul_u32_u24_sdwa v26, v59, v26 dst_sel:DWORD dst_unused:UNUSED_PAD src0_sel:WORD_0 src1_sel:DWORD
	v_lshlrev_b32_sdwa v59, v18, v60 dst_sel:DWORD dst_unused:UNUSED_PAD src0_sel:DWORD src1_sel:BYTE_0
	v_sub_nc_u16 v81, v0, v15
	ds_read2_b32 v[15:16], v21 offset0:124 offset1:187
	v_add3_u32 v62, 0, v62, v12
	v_add3_u32 v63, 0, v63, v11
	ds_read2_b32 v[11:12], v34 offset0:122 offset1:185
	v_sub_nc_u16 v82, v1, v64
	v_add3_u32 v64, 0, v31, v25
	v_add3_u32 v67, 0, v17, v59
	;; [unrolled: 1-line block ×3, first 2 shown]
	ds_read2_b32 v[24:25], v19 offset0:116 offset1:179
	ds_read2_b32 v[59:60], v35 offset0:120 offset1:183
	ds_read_b32 v68, v32 offset:3528
	v_lshlrev_b32_sdwa v65, v66, v81 dst_sel:DWORD dst_unused:UNUSED_PAD src0_sel:DWORD src1_sel:BYTE_0
	s_waitcnt vmcnt(4)
	v_mul_f32_e32 v70, v13, v30
	s_waitcnt lgkmcnt(4)
	v_mul_f32_e32 v17, v16, v28
	v_mul_f32_e32 v28, v5, v28
	;; [unrolled: 1-line block ×3, first 2 shown]
	ds_read2_b32 v[30:31], v32 offset1:63
	v_fmac_f32_e32 v70, v22, v29
	v_fma_f32 v5, v5, v27, -v17
	v_fmac_f32_e32 v28, v16, v27
	s_waitcnt vmcnt(3)
	v_mul_f32_e32 v22, v23, v39
	ds_read2_b32 v[16:17], v32 offset0:126 offset1:189
	v_mul_f32_e32 v27, v14, v39
	v_fma_f32 v13, v13, v29, -v69
	s_waitcnt lgkmcnt(5)
	v_mul_f32_e32 v29, v11, v37
	v_fma_f32 v14, v14, v38, -v22
	v_mul_f32_e32 v22, v48, v37
	v_fmac_f32_e32 v27, v23, v38
	s_waitcnt vmcnt(2)
	v_mul_f32_e32 v37, v12, v41
	v_mul_f32_e32 v23, v49, v41
	s_waitcnt lgkmcnt(4)
	v_mul_f32_e32 v38, v24, v43
	v_fmac_f32_e32 v22, v11, v36
	v_mul_f32_e32 v11, v55, v43
	v_fma_f32 v29, v48, v36, -v29
	s_waitcnt vmcnt(1)
	v_mul_f32_e32 v36, v25, v47
	s_waitcnt lgkmcnt(3)
	v_mul_f32_e32 v39, v59, v45
	v_mul_f32_e32 v41, v56, v47
	v_fma_f32 v37, v49, v40, -v37
	v_mul_f32_e32 v43, v57, v45
	s_waitcnt vmcnt(0)
	v_mul_f32_e32 v45, v60, v52
	v_fmac_f32_e32 v23, v12, v40
	v_mul_f32_e32 v12, v58, v52
	s_waitcnt lgkmcnt(2)
	v_mul_f32_e32 v40, v68, v54
	v_fmac_f32_e32 v11, v24, v42
	v_mul_f32_e32 v24, v61, v54
	v_fma_f32 v38, v55, v42, -v38
	v_fma_f32 v36, v56, v46, -v36
	;; [unrolled: 1-line block ×3, first 2 shown]
	v_fmac_f32_e32 v43, v59, v44
	v_fmac_f32_e32 v41, v25, v46
	v_fma_f32 v25, v58, v51, -v45
	v_fmac_f32_e32 v12, v60, v51
	v_fma_f32 v40, v61, v53, -v40
	v_fmac_f32_e32 v24, v68, v53
	v_add_f32_e32 v44, v5, v13
	v_sub_f32_e32 v45, v28, v70
	s_waitcnt lgkmcnt(1)
	v_add_f32_e32 v46, v30, v28
	v_add_f32_e32 v28, v28, v70
	;; [unrolled: 1-line block ×3, first 2 shown]
	v_sub_f32_e32 v49, v22, v27
	v_add_f32_e32 v51, v31, v22
	v_add_f32_e32 v22, v22, v27
	;; [unrolled: 1-line block ×4, first 2 shown]
	v_sub_f32_e32 v54, v23, v11
	s_waitcnt lgkmcnt(0)
	v_add_f32_e32 v55, v16, v23
	v_add_f32_e32 v23, v23, v11
	;; [unrolled: 1-line block ×5, first 2 shown]
	v_sub_f32_e32 v68, v12, v24
	v_add_f32_e32 v69, v15, v12
	v_add_f32_e32 v12, v12, v24
	v_fma_f32 v6, -0.5, v44, v6
	v_sub_f32_e32 v5, v5, v13
	v_add_f32_e32 v47, v7, v29
	v_fmac_f32_e32 v7, -0.5, v48
	v_fma_f32 v28, -0.5, v28, v30
	v_sub_f32_e32 v29, v29, v14
	v_add_f32_e32 v52, v8, v37
	v_fmac_f32_e32 v31, -0.5, v22
	v_fma_f32 v8, -0.5, v53, v8
	v_sub_f32_e32 v37, v37, v38
	v_add_f32_e32 v56, v9, v39
	v_sub_f32_e32 v39, v39, v36
	v_add_f32_e32 v58, v17, v43
	;; [unrolled: 2-line block ×3, first 2 shown]
	v_add_f32_e32 v13, v42, v13
	v_fmac_f32_e32 v9, -0.5, v57
	v_fmac_f32_e32 v17, -0.5, v59
	;; [unrolled: 1-line block ×3, first 2 shown]
	v_fma_f32 v16, -0.5, v23, v16
	v_fmac_f32_e32 v15, -0.5, v12
	v_fmamk_f32 v12, v45, 0x3f5db3d7, v6
	v_fmac_f32_e32 v6, 0xbf5db3d7, v45
	v_add_f32_e32 v14, v47, v14
	v_add_f32_e32 v23, v69, v24
	v_fmamk_f32 v24, v5, 0xbf5db3d7, v28
	v_fmac_f32_e32 v28, 0x3f5db3d7, v5
	v_fmamk_f32 v5, v49, 0x3f5db3d7, v7
	v_fmac_f32_e32 v7, 0xbf5db3d7, v49
	v_add_f32_e32 v22, v52, v38
	v_fmamk_f32 v30, v29, 0xbf5db3d7, v31
	v_fmac_f32_e32 v31, 0x3f5db3d7, v29
	v_fmamk_f32 v29, v54, 0x3f5db3d7, v8
	s_barrier
	buffer_gl0_inv
	v_sub_f32_e32 v25, v25, v40
	v_add_f32_e32 v36, v56, v36
	v_add_f32_e32 v38, v60, v40
	v_fmac_f32_e32 v8, 0xbf5db3d7, v54
	v_fmamk_f32 v40, v37, 0xbf5db3d7, v16
	v_fmac_f32_e32 v16, 0x3f5db3d7, v37
	v_fmamk_f32 v37, v43, 0x3f5db3d7, v9
	;; [unrolled: 2-line block ×4, first 2 shown]
	v_fmac_f32_e32 v4, 0xbf5db3d7, v68
	ds_write2_b32 v62, v13, v12 offset1:9
	ds_write_b32 v62, v6 offset:72
	ds_write2_b32 v63, v14, v5 offset1:9
	ds_write_b32 v63, v7 offset:72
	;; [unrolled: 2-line block ×5, first 2 shown]
	v_lshrrev_b16 v14, 9, v20
	v_add_f32_e32 v70, v46, v70
	v_add_f32_e32 v27, v51, v27
	;; [unrolled: 1-line block ×3, first 2 shown]
	v_fmamk_f32 v47, v25, 0xbf5db3d7, v15
	v_mul_lo_u16 v12, v14, 27
	v_fmac_f32_e32 v15, 0x3f5db3d7, v25
	v_add_f32_e32 v41, v58, v41
	s_waitcnt lgkmcnt(0)
	s_barrier
	buffer_gl0_inv
	ds_read2_b32 v[8:9], v32 offset1:63
	ds_read2_b32 v[74:75], v32 offset0:126 offset1:189
	ds_read2_b32 v[37:38], v34 offset0:122 offset1:185
	;; [unrolled: 1-line block ×6, first 2 shown]
	ds_read_b32 v13, v32 offset:3528
	s_waitcnt lgkmcnt(0)
	s_barrier
	buffer_gl0_inv
	ds_write2_b32 v62, v70, v24 offset1:9
	ds_write_b32 v62, v28 offset:72
	ds_write2_b32 v63, v27, v30 offset1:9
	ds_write_b32 v63, v31 offset:72
	;; [unrolled: 2-line block ×5, first 2 shown]
	s_waitcnt lgkmcnt(0)
	s_barrier
	buffer_gl0_inv
	global_load_dwordx4 v[4:7], v65, s[8:9] offset:192
	v_lshlrev_b32_sdwa v11, v66, v82 dst_sel:DWORD dst_unused:UNUSED_PAD src0_sel:DWORD src1_sel:BYTE_0
	v_sub_nc_u16 v15, v50, v12
	s_clause 0x2
	global_load_dwordx4 v[22:25], v65, s[8:9] offset:208
	global_load_dwordx4 v[26:29], v11, s[8:9] offset:192
	global_load_dwordx4 v[62:65], v11, s[8:9] offset:208
	v_lshlrev_b32_sdwa v11, v66, v15 dst_sel:DWORD dst_unused:UNUSED_PAD src0_sel:DWORD src1_sel:BYTE_0
	s_clause 0x1
	global_load_dwordx4 v[66:69], v11, s[8:9] offset:192
	global_load_dwordx4 v[70:73], v11, s[8:9] offset:208
	v_mov_b32_e32 v16, 0x21c
	ds_read2_b32 v[11:12], v32 offset0:126 offset1:189
	ds_read2_b32 v[30:31], v34 offset0:122 offset1:185
	v_lshlrev_b32_sdwa v20, v18, v81 dst_sel:DWORD dst_unused:UNUSED_PAD src0_sel:DWORD src1_sel:BYTE_0
	v_lshlrev_b32_sdwa v39, v18, v82 dst_sel:DWORD dst_unused:UNUSED_PAD src0_sel:DWORD src1_sel:BYTE_0
	v_mul_u32_u24_sdwa v10, v10, v16 dst_sel:DWORD dst_unused:UNUSED_PAD src0_sel:WORD_0 src1_sel:DWORD
	v_mul_u32_u24_sdwa v17, v80, v16 dst_sel:DWORD dst_unused:UNUSED_PAD src0_sel:WORD_0 src1_sel:DWORD
	;; [unrolled: 1-line block ×3, first 2 shown]
	v_lshlrev_b32_sdwa v15, v18, v15 dst_sel:DWORD dst_unused:UNUSED_PAD src0_sel:DWORD src1_sel:BYTE_0
	ds_read2_b32 v[47:48], v35 offset0:120 offset1:183
	ds_read2_b32 v[80:81], v19 offset0:116 offset1:179
	v_add3_u32 v36, 0, v10, v20
	v_add3_u32 v18, 0, v17, v39
	;; [unrolled: 1-line block ×3, first 2 shown]
	ds_read2_b32 v[20:21], v21 offset0:124 offset1:187
	ds_read2_b32 v[82:83], v33 offset0:118 offset1:181
	ds_read_b32 v51, v32 offset:3528
	ds_read2_b32 v[14:15], v32 offset1:63
	v_add_nc_u32_e32 v16, 0xc00, v32
	s_waitcnt vmcnt(0) lgkmcnt(0)
	s_barrier
	buffer_gl0_inv
	v_mul_f32_e32 v10, v12, v5
	v_mul_f32_e32 v54, v75, v5
	;; [unrolled: 1-line block ×9, first 2 shown]
	v_fma_f32 v58, v75, v4, -v10
	v_fmac_f32_e32 v54, v12, v4
	v_fma_f32 v59, v37, v6, -v5
	v_fmac_f32_e32 v56, v30, v6
	v_mul_f32_e32 v4, v20, v27
	v_mul_f32_e32 v5, v81, v65
	;; [unrolled: 1-line block ×5, first 2 shown]
	v_fma_f32 v60, v43, v22, -v7
	v_fmac_f32_e32 v49, v48, v22
	v_fma_f32 v61, v45, v24, -v23
	v_mul_f32_e32 v7, v21, v67
	v_fma_f32 v48, v38, v28, -v25
	v_mul_f32_e32 v38, v77, v67
	v_mul_f32_e32 v12, v47, v69
	;; [unrolled: 1-line block ×4, first 2 shown]
	v_fma_f32 v53, v76, v26, -v4
	v_mul_f32_e32 v4, v51, v73
	v_fma_f32 v57, v46, v64, -v5
	v_fma_f32 v55, v78, v62, -v6
	v_mul_f32_e32 v44, v46, v65
	v_mul_f32_e32 v45, v78, v63
	v_fmac_f32_e32 v52, v80, v24
	v_fmac_f32_e32 v41, v20, v26
	v_mul_f32_e32 v40, v79, v71
	v_mul_f32_e32 v37, v13, v73
	v_fma_f32 v46, v77, v66, -v7
	v_fmac_f32_e32 v38, v21, v66
	v_fma_f32 v42, v42, v68, -v12
	v_fmac_f32_e32 v39, v47, v68
	v_fma_f32 v43, v79, v70, -v22
	v_fma_f32 v47, v13, v72, -v4
	v_add_f32_e32 v4, v59, v60
	v_sub_f32_e32 v7, v58, v59
	v_sub_f32_e32 v12, v61, v60
	;; [unrolled: 1-line block ×6, first 2 shown]
	v_add_f32_e32 v13, v58, v61
	v_fmac_f32_e32 v44, v81, v64
	v_add_f32_e32 v23, v48, v55
	v_fmac_f32_e32 v10, v31, v28
	v_fmac_f32_e32 v45, v82, v62
	v_add_f32_e32 v27, v53, v57
	v_fmac_f32_e32 v40, v83, v70
	v_fmac_f32_e32 v37, v51, v72
	v_sub_f32_e32 v5, v54, v52
	v_sub_f32_e32 v28, v48, v53
	;; [unrolled: 1-line block ×3, first 2 shown]
	v_add_f32_e32 v31, v42, v43
	v_add_f32_e32 v63, v46, v47
	v_add_f32_e32 v69, v8, v58
	v_add_f32_e32 v7, v7, v12
	v_add_f32_e32 v12, v20, v21
	v_add_f32_e32 v20, v25, v26
	v_fma_f32 v25, -0.5, v4, v8
	v_sub_f32_e32 v6, v56, v49
	v_add_f32_e32 v30, v74, v46
	v_fma_f32 v8, -0.5, v13, v8
	v_add_f32_e32 v22, v9, v53
	v_sub_f32_e32 v24, v41, v44
	v_fma_f32 v21, -0.5, v23, v9
	v_sub_f32_e32 v51, v46, v42
	v_sub_f32_e32 v62, v47, v43
	;; [unrolled: 1-line block ×3, first 2 shown]
	v_fmac_f32_e32 v9, -0.5, v27
	v_sub_f32_e32 v67, v38, v37
	v_sub_f32_e32 v68, v39, v40
	v_add_f32_e32 v23, v28, v29
	v_fma_f32 v4, -0.5, v31, v74
	v_fmac_f32_e32 v74, -0.5, v63
	v_add_f32_e32 v27, v69, v59
	v_fmamk_f32 v29, v5, 0x3f737871, v25
	v_add_f32_e32 v28, v30, v42
	v_fmamk_f32 v30, v6, 0xbf737871, v8
	v_fmac_f32_e32 v8, 0x3f737871, v6
	v_fmac_f32_e32 v25, 0xbf737871, v5
	v_add_f32_e32 v22, v22, v48
	v_fmamk_f32 v31, v24, 0x3f737871, v21
	v_add_f32_e32 v13, v51, v62
	v_fmac_f32_e32 v21, 0xbf737871, v24
	v_fmamk_f32 v51, v66, 0xbf737871, v9
	v_fmac_f32_e32 v9, 0x3f737871, v66
	v_sub_f32_e32 v64, v42, v46
	v_sub_f32_e32 v65, v43, v47
	v_fmamk_f32 v62, v67, 0x3f737871, v4
	v_fmac_f32_e32 v4, 0xbf737871, v67
	v_fmamk_f32 v63, v68, 0xbf737871, v74
	v_fmac_f32_e32 v74, 0x3f737871, v68
	v_add_f32_e32 v27, v27, v60
	v_fmac_f32_e32 v29, 0x3f167918, v6
	v_fmac_f32_e32 v30, 0x3f167918, v5
	v_fmac_f32_e32 v8, 0xbf167918, v5
	v_fmac_f32_e32 v25, 0xbf167918, v6
	v_add_f32_e32 v22, v22, v55
	v_fmac_f32_e32 v31, 0x3f167918, v66
	v_add_f32_e32 v28, v28, v43
	v_fmac_f32_e32 v21, 0xbf167918, v66
	v_fmac_f32_e32 v51, 0x3f167918, v24
	v_fmac_f32_e32 v9, 0xbf167918, v24
	v_add_f32_e32 v26, v64, v65
	v_fmac_f32_e32 v62, 0x3f167918, v68
	v_fmac_f32_e32 v4, 0xbf167918, v68
	v_fmac_f32_e32 v63, 0x3f167918, v67
	v_fmac_f32_e32 v74, 0xbf167918, v67
	v_add_f32_e32 v5, v27, v61
	v_fmac_f32_e32 v29, 0x3e9e377a, v7
	;; [unrolled: 5-line block ×3, first 2 shown]
	v_add_f32_e32 v22, v28, v47
	v_fmac_f32_e32 v21, 0x3e9e377a, v20
	v_fmac_f32_e32 v51, 0x3e9e377a, v23
	;; [unrolled: 1-line block ×7, first 2 shown]
	ds_write2_b32 v36, v5, v29 offset1:27
	ds_write2_b32 v36, v30, v8 offset0:54 offset1:81
	ds_write_b32 v36, v25 offset:432
	ds_write2_b32 v18, v6, v31 offset1:27
	ds_write2_b32 v18, v51, v9 offset0:54 offset1:81
	ds_write_b32 v18, v21 offset:432
	;; [unrolled: 3-line block ×3, first 2 shown]
	s_waitcnt lgkmcnt(0)
	s_barrier
	buffer_gl0_inv
	ds_read2_b32 v[12:13], v32 offset1:63
	ds_read2_b32 v[22:23], v32 offset0:135 offset1:198
	ds_read2_b32 v[20:21], v34 offset0:14 offset1:77
	;; [unrolled: 1-line block ×6, first 2 shown]
                                        ; implicit-def: $vgpr8
                                        ; implicit-def: $vgpr51
                                        ; implicit-def: $vgpr6
	s_and_saveexec_b32 s1, s0
	s_cbranch_execz .LBB0_13
; %bb.12:
	v_add_nc_u32_e32 v4, 0x100, v32
	ds_read2_b32 v[8:9], v35 offset0:12 offset1:147
	ds_read2_b32 v[6:7], v19 offset0:26 offset1:161
	;; [unrolled: 1-line block ×3, first 2 shown]
	ds_read_b32 v51, v32 offset:3744
.LBB0_13:
	s_or_b32 exec_lo, exec_lo, s1
	v_add_f32_e32 v35, v14, v54
	v_add_f32_e32 v19, v56, v49
	;; [unrolled: 1-line block ×3, first 2 shown]
	v_sub_f32_e32 v58, v58, v61
	v_sub_f32_e32 v59, v59, v60
	v_add_f32_e32 v35, v35, v56
	v_sub_f32_e32 v60, v54, v56
	v_fma_f32 v19, -0.5, v19, v14
	v_sub_f32_e32 v61, v52, v49
	v_sub_f32_e32 v54, v56, v54
	v_add_f32_e32 v35, v35, v49
	v_fma_f32 v14, -0.5, v62, v14
	v_sub_f32_e32 v49, v49, v52
	v_fmamk_f32 v56, v58, 0xbf737871, v19
	v_add_f32_e32 v60, v60, v61
	v_add_f32_e32 v35, v35, v52
	;; [unrolled: 1-line block ×3, first 2 shown]
	v_fmac_f32_e32 v19, 0x3f737871, v58
	v_fmamk_f32 v61, v59, 0x3f737871, v14
	v_add_f32_e32 v49, v54, v49
	v_fmac_f32_e32 v14, 0xbf737871, v59
	v_add_f32_e32 v54, v15, v41
	v_fma_f32 v52, -0.5, v52, v15
	v_sub_f32_e32 v53, v53, v57
	v_fmac_f32_e32 v56, 0xbf167918, v59
	v_fmac_f32_e32 v19, 0x3f167918, v59
	;; [unrolled: 1-line block ×4, first 2 shown]
	v_add_f32_e32 v54, v54, v10
	v_fmamk_f32 v57, v53, 0xbf737871, v52
	v_sub_f32_e32 v48, v48, v55
	v_sub_f32_e32 v55, v41, v10
	;; [unrolled: 1-line block ×3, first 2 shown]
	v_fmac_f32_e32 v52, 0x3f737871, v53
	v_add_f32_e32 v59, v41, v44
	v_add_f32_e32 v54, v54, v45
	v_fmac_f32_e32 v57, 0xbf167918, v48
	v_add_f32_e32 v55, v55, v58
	v_fmac_f32_e32 v52, 0x3f167918, v48
	v_fmac_f32_e32 v15, -0.5, v59
	v_fmac_f32_e32 v61, 0x3e9e377a, v49
	v_fmac_f32_e32 v14, 0x3e9e377a, v49
	v_add_f32_e32 v49, v54, v44
	v_fmac_f32_e32 v57, 0x3e9e377a, v55
	v_fmac_f32_e32 v52, 0x3e9e377a, v55
	v_fmamk_f32 v54, v48, 0x3f737871, v15
	v_add_f32_e32 v55, v39, v40
	v_sub_f32_e32 v41, v10, v41
	v_sub_f32_e32 v44, v45, v44
	v_fmac_f32_e32 v15, 0xbf737871, v48
	v_add_f32_e32 v45, v11, v38
	v_sub_f32_e32 v46, v46, v47
	v_add_f32_e32 v47, v38, v37
	v_fma_f32 v10, -0.5, v55, v11
	v_fmac_f32_e32 v54, 0xbf167918, v53
	v_add_f32_e32 v41, v41, v44
	v_fmac_f32_e32 v15, 0x3f167918, v53
	v_add_f32_e32 v44, v45, v39
	v_sub_f32_e32 v42, v42, v43
	v_fmac_f32_e32 v11, -0.5, v47
	v_fmamk_f32 v45, v46, 0xbf737871, v10
	v_fmac_f32_e32 v54, 0x3e9e377a, v41
	v_fmac_f32_e32 v15, 0x3e9e377a, v41
	v_add_f32_e32 v41, v44, v40
	v_sub_f32_e32 v43, v38, v39
	v_sub_f32_e32 v44, v37, v40
	v_fmamk_f32 v47, v42, 0x3f737871, v11
	v_sub_f32_e32 v38, v39, v38
	v_sub_f32_e32 v39, v40, v37
	v_fmac_f32_e32 v10, 0x3f737871, v46
	v_fmac_f32_e32 v11, 0xbf737871, v42
	;; [unrolled: 1-line block ×3, first 2 shown]
	v_add_f32_e32 v40, v43, v44
	v_fmac_f32_e32 v47, 0xbf167918, v46
	v_add_f32_e32 v38, v38, v39
	v_fmac_f32_e32 v56, 0x3e9e377a, v60
	v_fmac_f32_e32 v10, 0x3f167918, v42
	;; [unrolled: 1-line block ×6, first 2 shown]
	v_add_f32_e32 v37, v41, v37
	v_fmac_f32_e32 v10, 0x3e9e377a, v40
	v_fmac_f32_e32 v11, 0x3e9e377a, v38
	s_waitcnt lgkmcnt(0)
	s_barrier
	buffer_gl0_inv
	ds_write2_b32 v36, v35, v56 offset1:27
	ds_write2_b32 v36, v61, v14 offset0:54 offset1:81
	ds_write_b32 v36, v19 offset:432
	ds_write2_b32 v18, v49, v57 offset1:27
	ds_write2_b32 v18, v54, v15 offset0:54 offset1:81
	ds_write_b32 v18, v52 offset:432
	;; [unrolled: 3-line block ×3, first 2 shown]
	s_waitcnt lgkmcnt(0)
	s_barrier
	buffer_gl0_inv
	ds_read2_b32 v[18:19], v32 offset1:63
	ds_read2_b32 v[46:47], v32 offset0:135 offset1:198
	ds_read2_b32 v[38:39], v34 offset0:14 offset1:77
	;; [unrolled: 1-line block ×6, first 2 shown]
                                        ; implicit-def: $vgpr16
                                        ; implicit-def: $vgpr14
                                        ; implicit-def: $vgpr52
	s_and_saveexec_b32 s1, s0
	s_cbranch_execz .LBB0_15
; %bb.14:
	v_add_nc_u32_e32 v10, 0x100, v32
	v_add_nc_u32_e32 v14, 0x600, v32
	;; [unrolled: 1-line block ×3, first 2 shown]
	ds_read2_b32 v[10:11], v10 offset0:62 offset1:197
	ds_read2_b32 v[16:17], v14 offset0:12 offset1:147
	;; [unrolled: 1-line block ×3, first 2 shown]
	ds_read_b32 v52, v32 offset:3744
.LBB0_15:
	s_or_b32 exec_lo, exec_lo, s1
	s_and_saveexec_b32 s1, vcc_lo
	s_cbranch_execz .LBB0_18
; %bb.16:
	v_mul_u32_u24_e32 v1, 6, v1
	v_mul_u32_u24_e32 v32, 6, v0
	v_add_co_u32 v2, vcc_lo, s2, v2
	v_add_co_ci_u32_e32 v3, vcc_lo, s3, v3, vcc_lo
	v_lshlrev_b32_e32 v1, 3, v1
	v_lshlrev_b32_e32 v32, 3, v32
	s_clause 0x5
	global_load_dwordx4 v[53:56], v1, s[8:9] offset:1072
	global_load_dwordx4 v[57:60], v1, s[8:9] offset:1088
	;; [unrolled: 1-line block ×6, first 2 shown]
	v_mov_b32_e32 v1, 0
	v_lshlrev_b64 v[32:33], 3, v[0:1]
	v_add_co_u32 v2, vcc_lo, v2, v32
	v_add_co_ci_u32_e32 v3, vcc_lo, v3, v33, vcc_lo
	v_add_co_u32 v34, vcc_lo, 0x800, v2
	v_add_co_ci_u32_e32 v35, vcc_lo, 0, v3, vcc_lo
	;; [unrolled: 2-line block ×4, first 2 shown]
	s_waitcnt vmcnt(3) lgkmcnt(5)
	v_mul_f32_e32 v81, v47, v62
	s_waitcnt lgkmcnt(2)
	v_mul_f32_e32 v77, v45, v56
	v_mul_f32_e32 v78, v43, v54
	;; [unrolled: 1-line block ×4, first 2 shown]
	s_waitcnt lgkmcnt(0)
	v_mul_f32_e32 v79, v49, v60
	v_mul_f32_e32 v80, v41, v58
	;; [unrolled: 1-line block ×7, first 2 shown]
	s_waitcnt vmcnt(2)
	v_mul_f32_e32 v83, v48, v68
	s_waitcnt vmcnt(1)
	v_mul_f32_e32 v84, v46, v70
	v_fma_f32 v29, v29, v55, -v77
	v_fma_f32 v25, v25, v53, -v78
	v_fmac_f32_e32 v54, v43, v53
	v_fmac_f32_e32 v56, v45, v55
	v_mul_f32_e32 v53, v30, v68
	v_mul_f32_e32 v55, v38, v72
	v_fmac_f32_e32 v60, v49, v59
	v_fmac_f32_e32 v58, v41, v57
	v_mul_f32_e32 v41, v22, v70
	v_mul_f32_e32 v49, v40, v66
	;; [unrolled: 4-line block ×3, first 2 shown]
	s_waitcnt vmcnt(0)
	v_mul_f32_e32 v43, v44, v76
	v_mul_f32_e32 v45, v42, v74
	v_fma_f32 v31, v31, v59, -v79
	v_fma_f32 v27, v27, v57, -v80
	v_mul_f32_e32 v57, v28, v76
	v_mul_f32_e32 v59, v24, v74
	v_fma_f32 v23, v23, v61, -v81
	v_fma_f32 v21, v21, v63, -v82
	;; [unrolled: 1-line block ×6, first 2 shown]
	v_fmac_f32_e32 v53, v48, v67
	v_fmac_f32_e32 v41, v46, v69
	;; [unrolled: 1-line block ×4, first 2 shown]
	v_fma_f32 v28, v28, v75, -v43
	v_fma_f32 v24, v24, v73, -v45
	v_fmac_f32_e32 v59, v42, v73
	v_fmac_f32_e32 v57, v44, v75
	v_sub_f32_e32 v38, v23, v31
	v_sub_f32_e32 v40, v29, v25
	;; [unrolled: 1-line block ×3, first 2 shown]
	v_add_f32_e32 v43, v62, v60
	v_add_f32_e32 v44, v56, v54
	;; [unrolled: 1-line block ×6, first 2 shown]
	v_sub_f32_e32 v27, v62, v60
	v_sub_f32_e32 v29, v56, v54
	;; [unrolled: 1-line block ×5, first 2 shown]
	v_add_f32_e32 v54, v41, v53
	v_add_f32_e32 v56, v39, v47
	;; [unrolled: 1-line block ×4, first 2 shown]
	v_sub_f32_e32 v48, v28, v24
	v_add_f32_e32 v55, v57, v59
	v_add_f32_e32 v24, v28, v24
	v_sub_f32_e32 v26, v41, v53
	v_sub_f32_e32 v28, v57, v59
	;; [unrolled: 1-line block ×5, first 2 shown]
	v_add_f32_e32 v40, v40, v42
	v_sub_f32_e32 v47, v43, v44
	v_add_f32_e32 v57, v43, v45
	v_sub_f32_e32 v58, v23, v25
	v_sub_f32_e32 v59, v25, v21
	v_add_f32_e32 v60, v23, v21
	v_sub_f32_e32 v61, v27, v29
	;; [unrolled: 3-line block ×3, first 2 shown]
	v_sub_f32_e32 v21, v21, v23
	v_sub_f32_e32 v23, v31, v27
	v_add_f32_e32 v65, v54, v56
	v_add_f32_e32 v68, v22, v20
	v_sub_f32_e32 v53, v44, v45
	v_sub_f32_e32 v43, v45, v43
	;; [unrolled: 1-line block ×4, first 2 shown]
	v_add_f32_e32 v48, v48, v49
	v_sub_f32_e32 v63, v54, v55
	v_sub_f32_e32 v64, v55, v56
	;; [unrolled: 1-line block ×6, first 2 shown]
	v_add_f32_e32 v28, v28, v30
	v_sub_f32_e32 v49, v49, v46
	v_sub_f32_e32 v54, v56, v54
	;; [unrolled: 1-line block ×3, first 2 shown]
	v_mul_f32_e32 v41, 0xbf08b237, v41
	v_add_f32_e32 v38, v38, v40
	v_mul_f32_e32 v40, 0x3f4a47b2, v47
	v_add_f32_e32 v44, v44, v57
	v_mul_f32_e32 v56, 0x3f4a47b2, v58
	v_mul_f32_e32 v57, 0x3d64c772, v59
	v_add_f32_e32 v25, v25, v60
	v_mul_f32_e32 v59, 0xbf08b237, v62
	v_add_f32_e32 v27, v27, v29
	v_mul_f32_e32 v29, 0x3f5ff5aa, v42
	v_mul_f32_e32 v60, 0x3f5ff5aa, v23
	v_add_f32_e32 v55, v55, v65
	v_add_f32_e32 v24, v24, v68
	v_sub_f32_e32 v22, v20, v22
	v_mul_f32_e32 v53, 0x3d64c772, v53
	v_mul_f32_e32 v45, 0xbf08b237, v45
	v_add_f32_e32 v46, v46, v48
	v_mul_f32_e32 v48, 0x3f4a47b2, v63
	v_mul_f32_e32 v62, 0x3d64c772, v64
	;; [unrolled: 1-line block ×4, first 2 shown]
	v_add_f32_e32 v26, v26, v28
	v_mul_f32_e32 v28, 0x3f5ff5aa, v49
	v_mul_f32_e32 v68, 0x3f5ff5aa, v30
	v_fmamk_f32 v70, v39, 0x3eae86e6, v41
	v_add_f32_e32 v20, v19, v44
	v_add_f32_e32 v19, v13, v25
	v_fmamk_f32 v71, v61, 0x3eae86e6, v59
	v_fma_f32 v29, 0xbeae86e6, v39, -v29
	v_fma_f32 v39, 0xbf3bfb3b, v43, -v40
	;; [unrolled: 1-line block ×6, first 2 shown]
	v_add_f32_e32 v13, v18, v55
	v_add_f32_e32 v12, v12, v24
	v_mul_f32_e32 v64, 0x3f4a47b2, v66
	v_fmamk_f32 v47, v47, 0x3f4a47b2, v53
	v_fmamk_f32 v58, v58, 0x3f4a47b2, v57
	v_fma_f32 v43, 0x3f3bfb3b, v43, -v53
	v_fma_f32 v21, 0x3f3bfb3b, v21, -v57
	v_fmamk_f32 v53, v31, 0x3eae86e6, v45
	v_fmamk_f32 v23, v63, 0x3f4a47b2, v62
	v_fmamk_f32 v18, v66, 0x3f4a47b2, v65
	v_fmamk_f32 v57, v69, 0x3eae86e6, v67
	v_fma_f32 v59, 0xbeae86e6, v31, -v28
	v_fma_f32 v28, 0xbf3bfb3b, v54, -v48
	v_fma_f32 v48, 0xbeae86e6, v69, -v68
	v_fma_f32 v54, 0x3f3bfb3b, v54, -v62
	v_fma_f32 v45, 0x3f5ff5aa, v49, -v45
	v_fma_f32 v30, 0x3f5ff5aa, v30, -v67
	v_fmamk_f32 v44, v44, 0xbf955555, v20
	v_fmamk_f32 v25, v25, 0xbf955555, v19
	v_fmac_f32_e32 v71, 0x3ee1c552, v27
	v_fmac_f32_e32 v56, 0x3ee1c552, v27
	v_fmac_f32_e32 v42, 0x3ee1c552, v27
	v_fmamk_f32 v27, v55, 0xbf955555, v13
	v_fmamk_f32 v24, v24, 0xbf955555, v12
	v_fma_f32 v31, 0xbf3bfb3b, v22, -v64
	v_fma_f32 v22, 0x3f3bfb3b, v22, -v65
	v_fmac_f32_e32 v70, 0x3ee1c552, v38
	v_fmac_f32_e32 v29, 0x3ee1c552, v38
	;; [unrolled: 1-line block ×9, first 2 shown]
	v_add_f32_e32 v26, v47, v44
	v_add_f32_e32 v38, v58, v25
	;; [unrolled: 1-line block ×12, first 2 shown]
	global_store_dwordx2 v[2:3], v[12:13], off
	global_store_dwordx2 v[2:3], v[19:20], off offset:504
	v_add_f32_e32 v19, v29, v39
	v_sub_f32_e32 v21, v43, v41
	v_add_f32_e32 v20, v42, v25
	v_add_f32_e32 v23, v41, v43
	v_sub_f32_e32 v22, v25, v42
	v_sub_f32_e32 v25, v39, v29
	v_add_f32_e32 v29, v53, v44
	v_sub_f32_e32 v39, v54, v45
	v_add_f32_e32 v41, v45, v54
	;; [unrolled: 2-line block ×6, first 2 shown]
	v_sub_f32_e32 v12, v38, v71
	v_sub_f32_e32 v27, v26, v70
	v_add_f32_e32 v26, v71, v38
	v_add_f32_e32 v38, v30, v55
	v_add_f32_e32 v31, v59, v47
	v_sub_f32_e32 v30, v49, v48
	v_sub_f32_e32 v28, v46, v57
	global_store_dwordx2 v[2:3], v[44:45], off offset:1080
	global_store_dwordx2 v[34:35], v[42:43], off offset:112
	;; [unrolled: 1-line block ×12, first 2 shown]
	s_and_b32 exec_lo, exec_lo, s0
	s_cbranch_execz .LBB0_18
; %bb.17:
	v_add_nc_u32_e32 v0, -9, v0
	v_cndmask_b32_e64 v0, v0, v50, s0
	v_mul_i32_i24_e32 v0, 6, v0
	v_lshlrev_b64 v[0:1], 3, v[0:1]
	v_add_co_u32 v0, vcc_lo, s8, v0
	v_add_co_ci_u32_e32 v1, vcc_lo, s9, v1, vcc_lo
	s_clause 0x2
	global_load_dwordx4 v[18:21], v[0:1], off offset:1056
	global_load_dwordx4 v[22:25], v[0:1], off offset:1072
	;; [unrolled: 1-line block ×3, first 2 shown]
	s_waitcnt vmcnt(2)
	v_mul_f32_e32 v0, v11, v19
	v_mul_f32_e32 v1, v5, v19
	v_mul_f32_e32 v12, v16, v21
	v_mul_f32_e32 v13, v8, v21
	s_waitcnt vmcnt(1)
	v_mul_f32_e32 v19, v17, v23
	s_waitcnt vmcnt(0)
	v_mul_f32_e32 v30, v15, v27
	v_mul_f32_e32 v27, v7, v27
	;; [unrolled: 1-line block ×7, first 2 shown]
	v_fma_f32 v0, v5, v18, -v0
	v_fmac_f32_e32 v1, v11, v18
	v_fma_f32 v5, v8, v20, -v12
	v_fmac_f32_e32 v13, v16, v20
	v_fma_f32 v8, v9, v22, -v19
	v_fma_f32 v9, v51, v28, -v31
	v_fmac_f32_e32 v29, v52, v28
	v_fma_f32 v7, v7, v26, -v30
	v_fmac_f32_e32 v27, v15, v26
	v_fmac_f32_e32 v21, v17, v22
	v_fma_f32 v6, v6, v24, -v23
	v_fmac_f32_e32 v25, v14, v24
	v_add_f32_e32 v11, v0, v9
	v_add_f32_e32 v12, v1, v29
	v_sub_f32_e32 v0, v0, v9
	v_add_f32_e32 v9, v5, v7
	v_add_f32_e32 v14, v13, v27
	v_sub_f32_e32 v5, v5, v7
	v_sub_f32_e32 v7, v13, v27
	v_add_f32_e32 v13, v8, v6
	v_add_f32_e32 v15, v21, v25
	v_sub_f32_e32 v6, v6, v8
	;; [unrolled: 4-line block ×3, first 2 shown]
	v_sub_f32_e32 v18, v9, v11
	v_sub_f32_e32 v19, v14, v12
	;; [unrolled: 1-line block ×6, first 2 shown]
	v_add_f32_e32 v20, v6, v5
	v_add_f32_e32 v21, v8, v7
	v_sub_f32_e32 v22, v6, v5
	v_sub_f32_e32 v23, v8, v7
	;; [unrolled: 1-line block ×3, first 2 shown]
	v_add_f32_e32 v13, v13, v16
	v_add_f32_e32 v15, v15, v17
	v_sub_f32_e32 v7, v7, v1
	v_sub_f32_e32 v6, v0, v6
	v_sub_f32_e32 v8, v1, v8
	v_add_f32_e32 v16, v20, v0
	v_add_f32_e32 v17, v21, v1
	v_mul_f32_e32 v11, 0x3f4a47b2, v11
	v_mul_f32_e32 v12, 0x3f4a47b2, v12
	;; [unrolled: 1-line block ×7, first 2 shown]
	v_add_f32_e32 v0, v4, v13
	v_add_f32_e32 v1, v10, v15
	v_mul_f32_e32 v25, 0x3f5ff5aa, v7
	v_fmamk_f32 v4, v9, 0x3d64c772, v11
	v_fmamk_f32 v9, v14, 0x3d64c772, v12
	v_fma_f32 v10, 0x3f3bfb3b, v18, -v20
	v_fma_f32 v14, 0x3f3bfb3b, v19, -v21
	;; [unrolled: 1-line block ×4, first 2 shown]
	v_fmamk_f32 v18, v6, 0x3eae86e6, v22
	v_fmamk_f32 v19, v8, 0x3eae86e6, v23
	v_fma_f32 v20, 0x3f5ff5aa, v5, -v22
	v_fma_f32 v21, 0xbeae86e6, v6, -v24
	v_fmamk_f32 v5, v13, 0xbf955555, v0
	v_fmamk_f32 v6, v15, 0xbf955555, v1
	v_fma_f32 v8, 0xbeae86e6, v8, -v25
	v_fma_f32 v7, 0x3f5ff5aa, v7, -v23
	v_fmac_f32_e32 v18, 0x3ee1c552, v16
	v_fmac_f32_e32 v19, 0x3ee1c552, v17
	v_add_f32_e32 v13, v4, v5
	v_add_f32_e32 v15, v9, v6
	v_fmac_f32_e32 v21, 0x3ee1c552, v16
	v_fmac_f32_e32 v8, 0x3ee1c552, v17
	v_add_f32_e32 v9, v10, v5
	v_add_f32_e32 v10, v11, v5
	;; [unrolled: 1-line block ×3, first 2 shown]
	v_fmac_f32_e32 v20, 0x3ee1c552, v16
	v_fmac_f32_e32 v7, 0x3ee1c552, v17
	v_add_f32_e32 v12, v14, v6
	global_store_dwordx2 v[2:3], v[0:1], off offset:1008
	v_add_f32_e32 v0, v19, v13
	v_sub_f32_e32 v1, v15, v18
	v_add_f32_e32 v2, v8, v10
	v_sub_f32_e32 v3, v11, v21
	v_sub_f32_e32 v4, v9, v7
	v_add_f32_e32 v5, v20, v12
	v_add_f32_e32 v6, v7, v9
	v_sub_f32_e32 v7, v12, v20
	v_sub_f32_e32 v8, v10, v8
	v_add_f32_e32 v9, v21, v11
	v_sub_f32_e32 v10, v13, v19
	v_add_f32_e32 v11, v18, v15
	global_store_dwordx2 v[34:35], v[0:1], off offset:40
	global_store_dwordx2 v[34:35], v[2:3], off offset:1120
	;; [unrolled: 1-line block ×6, first 2 shown]
.LBB0_18:
	s_endpgm
	.section	.rodata,"a",@progbits
	.p2align	6, 0x0
	.amdhsa_kernel fft_rtc_fwd_len945_factors_3_3_3_5_7_wgs_63_tpt_63_halfLds_sp_ip_CI_unitstride_sbrr_dirReg
		.amdhsa_group_segment_fixed_size 0
		.amdhsa_private_segment_fixed_size 0
		.amdhsa_kernarg_size 88
		.amdhsa_user_sgpr_count 6
		.amdhsa_user_sgpr_private_segment_buffer 1
		.amdhsa_user_sgpr_dispatch_ptr 0
		.amdhsa_user_sgpr_queue_ptr 0
		.amdhsa_user_sgpr_kernarg_segment_ptr 1
		.amdhsa_user_sgpr_dispatch_id 0
		.amdhsa_user_sgpr_flat_scratch_init 0
		.amdhsa_user_sgpr_private_segment_size 0
		.amdhsa_wavefront_size32 1
		.amdhsa_uses_dynamic_stack 0
		.amdhsa_system_sgpr_private_segment_wavefront_offset 0
		.amdhsa_system_sgpr_workgroup_id_x 1
		.amdhsa_system_sgpr_workgroup_id_y 0
		.amdhsa_system_sgpr_workgroup_id_z 0
		.amdhsa_system_sgpr_workgroup_info 0
		.amdhsa_system_vgpr_workitem_id 0
		.amdhsa_next_free_vgpr 85
		.amdhsa_next_free_sgpr 21
		.amdhsa_reserve_vcc 1
		.amdhsa_reserve_flat_scratch 0
		.amdhsa_float_round_mode_32 0
		.amdhsa_float_round_mode_16_64 0
		.amdhsa_float_denorm_mode_32 3
		.amdhsa_float_denorm_mode_16_64 3
		.amdhsa_dx10_clamp 1
		.amdhsa_ieee_mode 1
		.amdhsa_fp16_overflow 0
		.amdhsa_workgroup_processor_mode 1
		.amdhsa_memory_ordered 1
		.amdhsa_forward_progress 0
		.amdhsa_shared_vgpr_count 0
		.amdhsa_exception_fp_ieee_invalid_op 0
		.amdhsa_exception_fp_denorm_src 0
		.amdhsa_exception_fp_ieee_div_zero 0
		.amdhsa_exception_fp_ieee_overflow 0
		.amdhsa_exception_fp_ieee_underflow 0
		.amdhsa_exception_fp_ieee_inexact 0
		.amdhsa_exception_int_div_zero 0
	.end_amdhsa_kernel
	.text
.Lfunc_end0:
	.size	fft_rtc_fwd_len945_factors_3_3_3_5_7_wgs_63_tpt_63_halfLds_sp_ip_CI_unitstride_sbrr_dirReg, .Lfunc_end0-fft_rtc_fwd_len945_factors_3_3_3_5_7_wgs_63_tpt_63_halfLds_sp_ip_CI_unitstride_sbrr_dirReg
                                        ; -- End function
	.section	.AMDGPU.csdata,"",@progbits
; Kernel info:
; codeLenInByte = 9036
; NumSgprs: 23
; NumVgprs: 85
; ScratchSize: 0
; MemoryBound: 0
; FloatMode: 240
; IeeeMode: 1
; LDSByteSize: 0 bytes/workgroup (compile time only)
; SGPRBlocks: 2
; VGPRBlocks: 10
; NumSGPRsForWavesPerEU: 23
; NumVGPRsForWavesPerEU: 85
; Occupancy: 10
; WaveLimiterHint : 1
; COMPUTE_PGM_RSRC2:SCRATCH_EN: 0
; COMPUTE_PGM_RSRC2:USER_SGPR: 6
; COMPUTE_PGM_RSRC2:TRAP_HANDLER: 0
; COMPUTE_PGM_RSRC2:TGID_X_EN: 1
; COMPUTE_PGM_RSRC2:TGID_Y_EN: 0
; COMPUTE_PGM_RSRC2:TGID_Z_EN: 0
; COMPUTE_PGM_RSRC2:TIDIG_COMP_CNT: 0
	.text
	.p2alignl 6, 3214868480
	.fill 48, 4, 3214868480
	.type	__hip_cuid_8504163d55a6d133,@object ; @__hip_cuid_8504163d55a6d133
	.section	.bss,"aw",@nobits
	.globl	__hip_cuid_8504163d55a6d133
__hip_cuid_8504163d55a6d133:
	.byte	0                               ; 0x0
	.size	__hip_cuid_8504163d55a6d133, 1

	.ident	"AMD clang version 19.0.0git (https://github.com/RadeonOpenCompute/llvm-project roc-6.4.0 25133 c7fe45cf4b819c5991fe208aaa96edf142730f1d)"
	.section	".note.GNU-stack","",@progbits
	.addrsig
	.addrsig_sym __hip_cuid_8504163d55a6d133
	.amdgpu_metadata
---
amdhsa.kernels:
  - .args:
      - .actual_access:  read_only
        .address_space:  global
        .offset:         0
        .size:           8
        .value_kind:     global_buffer
      - .offset:         8
        .size:           8
        .value_kind:     by_value
      - .actual_access:  read_only
        .address_space:  global
        .offset:         16
        .size:           8
        .value_kind:     global_buffer
      - .actual_access:  read_only
        .address_space:  global
        .offset:         24
        .size:           8
        .value_kind:     global_buffer
      - .offset:         32
        .size:           8
        .value_kind:     by_value
      - .actual_access:  read_only
        .address_space:  global
        .offset:         40
        .size:           8
        .value_kind:     global_buffer
      - .actual_access:  read_only
        .address_space:  global
        .offset:         48
        .size:           8
        .value_kind:     global_buffer
      - .offset:         56
        .size:           4
        .value_kind:     by_value
      - .actual_access:  read_only
        .address_space:  global
        .offset:         64
        .size:           8
        .value_kind:     global_buffer
      - .actual_access:  read_only
        .address_space:  global
        .offset:         72
        .size:           8
        .value_kind:     global_buffer
      - .address_space:  global
        .offset:         80
        .size:           8
        .value_kind:     global_buffer
    .group_segment_fixed_size: 0
    .kernarg_segment_align: 8
    .kernarg_segment_size: 88
    .language:       OpenCL C
    .language_version:
      - 2
      - 0
    .max_flat_workgroup_size: 63
    .name:           fft_rtc_fwd_len945_factors_3_3_3_5_7_wgs_63_tpt_63_halfLds_sp_ip_CI_unitstride_sbrr_dirReg
    .private_segment_fixed_size: 0
    .sgpr_count:     23
    .sgpr_spill_count: 0
    .symbol:         fft_rtc_fwd_len945_factors_3_3_3_5_7_wgs_63_tpt_63_halfLds_sp_ip_CI_unitstride_sbrr_dirReg.kd
    .uniform_work_group_size: 1
    .uses_dynamic_stack: false
    .vgpr_count:     85
    .vgpr_spill_count: 0
    .wavefront_size: 32
    .workgroup_processor_mode: 1
amdhsa.target:   amdgcn-amd-amdhsa--gfx1030
amdhsa.version:
  - 1
  - 2
...

	.end_amdgpu_metadata
